;; amdgpu-corpus repo=ROCm/rocFFT kind=compiled arch=gfx906 opt=O3
	.text
	.amdgcn_target "amdgcn-amd-amdhsa--gfx906"
	.amdhsa_code_object_version 6
	.protected	fft_rtc_fwd_len96_factors_6_16_wgs_128_tpt_16_sp_op_CI_CI_unitstride_sbrr_dirReg ; -- Begin function fft_rtc_fwd_len96_factors_6_16_wgs_128_tpt_16_sp_op_CI_CI_unitstride_sbrr_dirReg
	.globl	fft_rtc_fwd_len96_factors_6_16_wgs_128_tpt_16_sp_op_CI_CI_unitstride_sbrr_dirReg
	.p2align	8
	.type	fft_rtc_fwd_len96_factors_6_16_wgs_128_tpt_16_sp_op_CI_CI_unitstride_sbrr_dirReg,@function
fft_rtc_fwd_len96_factors_6_16_wgs_128_tpt_16_sp_op_CI_CI_unitstride_sbrr_dirReg: ; @fft_rtc_fwd_len96_factors_6_16_wgs_128_tpt_16_sp_op_CI_CI_unitstride_sbrr_dirReg
; %bb.0:
	s_load_dwordx4 s[8:11], s[4:5], 0x58
	s_load_dwordx4 s[12:15], s[4:5], 0x0
	;; [unrolled: 1-line block ×3, first 2 shown]
	v_lshrrev_b32_e32 v7, 4, v0
	v_mov_b32_e32 v3, 0
	v_mov_b32_e32 v1, 0
	s_waitcnt lgkmcnt(0)
	v_cmp_lt_u64_e64 s[0:1], s[14:15], 2
	v_lshl_or_b32 v5, s6, 3, v7
	v_mov_b32_e32 v6, v3
	s_and_b64 vcc, exec, s[0:1]
	v_mov_b32_e32 v2, 0
	s_cbranch_vccnz .LBB0_8
; %bb.1:
	s_load_dwordx2 s[0:1], s[4:5], 0x10
	s_add_u32 s2, s18, 8
	s_addc_u32 s3, s19, 0
	s_add_u32 s6, s16, 8
	v_mov_b32_e32 v1, 0
	s_addc_u32 s7, s17, 0
	v_mov_b32_e32 v2, 0
	s_waitcnt lgkmcnt(0)
	s_add_u32 s20, s0, 8
	v_mov_b32_e32 v21, v2
	s_addc_u32 s21, s1, 0
	s_mov_b64 s[22:23], 1
	v_mov_b32_e32 v20, v1
.LBB0_2:                                ; =>This Inner Loop Header: Depth=1
	s_load_dwordx2 s[24:25], s[20:21], 0x0
                                        ; implicit-def: $vgpr22_vgpr23
	s_waitcnt lgkmcnt(0)
	v_or_b32_e32 v4, s25, v6
	v_cmp_ne_u64_e32 vcc, 0, v[3:4]
	s_and_saveexec_b64 s[0:1], vcc
	s_xor_b64 s[26:27], exec, s[0:1]
	s_cbranch_execz .LBB0_4
; %bb.3:                                ;   in Loop: Header=BB0_2 Depth=1
	v_cvt_f32_u32_e32 v4, s24
	v_cvt_f32_u32_e32 v8, s25
	s_sub_u32 s0, 0, s24
	s_subb_u32 s1, 0, s25
	v_mac_f32_e32 v4, 0x4f800000, v8
	v_rcp_f32_e32 v4, v4
	v_mul_f32_e32 v4, 0x5f7ffffc, v4
	v_mul_f32_e32 v8, 0x2f800000, v4
	v_trunc_f32_e32 v8, v8
	v_mac_f32_e32 v4, 0xcf800000, v8
	v_cvt_u32_f32_e32 v8, v8
	v_cvt_u32_f32_e32 v4, v4
	v_mul_lo_u32 v9, s0, v8
	v_mul_hi_u32 v10, s0, v4
	v_mul_lo_u32 v12, s1, v4
	v_mul_lo_u32 v11, s0, v4
	v_add_u32_e32 v9, v10, v9
	v_add_u32_e32 v9, v9, v12
	v_mul_hi_u32 v10, v4, v11
	v_mul_lo_u32 v12, v4, v9
	v_mul_hi_u32 v14, v4, v9
	v_mul_hi_u32 v13, v8, v11
	v_mul_lo_u32 v11, v8, v11
	v_mul_hi_u32 v15, v8, v9
	v_add_co_u32_e32 v10, vcc, v10, v12
	v_addc_co_u32_e32 v12, vcc, 0, v14, vcc
	v_mul_lo_u32 v9, v8, v9
	v_add_co_u32_e32 v10, vcc, v10, v11
	v_addc_co_u32_e32 v10, vcc, v12, v13, vcc
	v_addc_co_u32_e32 v11, vcc, 0, v15, vcc
	v_add_co_u32_e32 v9, vcc, v10, v9
	v_addc_co_u32_e32 v10, vcc, 0, v11, vcc
	v_add_co_u32_e32 v4, vcc, v4, v9
	v_addc_co_u32_e32 v8, vcc, v8, v10, vcc
	v_mul_lo_u32 v9, s0, v8
	v_mul_hi_u32 v10, s0, v4
	v_mul_lo_u32 v11, s1, v4
	v_mul_lo_u32 v12, s0, v4
	v_add_u32_e32 v9, v10, v9
	v_add_u32_e32 v9, v9, v11
	v_mul_lo_u32 v13, v4, v9
	v_mul_hi_u32 v14, v4, v12
	v_mul_hi_u32 v15, v4, v9
	v_mul_hi_u32 v11, v8, v12
	v_mul_lo_u32 v12, v8, v12
	v_mul_hi_u32 v10, v8, v9
	v_add_co_u32_e32 v13, vcc, v14, v13
	v_addc_co_u32_e32 v14, vcc, 0, v15, vcc
	v_mul_lo_u32 v9, v8, v9
	v_add_co_u32_e32 v12, vcc, v13, v12
	v_addc_co_u32_e32 v11, vcc, v14, v11, vcc
	v_addc_co_u32_e32 v10, vcc, 0, v10, vcc
	v_add_co_u32_e32 v9, vcc, v11, v9
	v_addc_co_u32_e32 v10, vcc, 0, v10, vcc
	v_add_co_u32_e32 v4, vcc, v4, v9
	v_addc_co_u32_e32 v10, vcc, v8, v10, vcc
	v_mad_u64_u32 v[8:9], s[0:1], v5, v10, 0
	v_mul_hi_u32 v11, v5, v4
	v_add_co_u32_e32 v12, vcc, v11, v8
	v_addc_co_u32_e32 v13, vcc, 0, v9, vcc
	v_mad_u64_u32 v[8:9], s[0:1], v6, v4, 0
	v_mad_u64_u32 v[10:11], s[0:1], v6, v10, 0
	v_add_co_u32_e32 v4, vcc, v12, v8
	v_addc_co_u32_e32 v4, vcc, v13, v9, vcc
	v_addc_co_u32_e32 v8, vcc, 0, v11, vcc
	v_add_co_u32_e32 v4, vcc, v4, v10
	v_addc_co_u32_e32 v10, vcc, 0, v8, vcc
	v_mul_lo_u32 v11, s25, v4
	v_mul_lo_u32 v12, s24, v10
	v_mad_u64_u32 v[8:9], s[0:1], s24, v4, 0
	v_add3_u32 v9, v9, v12, v11
	v_sub_u32_e32 v11, v6, v9
	v_mov_b32_e32 v12, s25
	v_sub_co_u32_e32 v8, vcc, v5, v8
	v_subb_co_u32_e64 v11, s[0:1], v11, v12, vcc
	v_subrev_co_u32_e64 v12, s[0:1], s24, v8
	v_subbrev_co_u32_e64 v11, s[0:1], 0, v11, s[0:1]
	v_cmp_le_u32_e64 s[0:1], s25, v11
	v_cndmask_b32_e64 v13, 0, -1, s[0:1]
	v_cmp_le_u32_e64 s[0:1], s24, v12
	v_cndmask_b32_e64 v12, 0, -1, s[0:1]
	v_cmp_eq_u32_e64 s[0:1], s25, v11
	v_cndmask_b32_e64 v11, v13, v12, s[0:1]
	v_add_co_u32_e64 v12, s[0:1], 2, v4
	v_addc_co_u32_e64 v13, s[0:1], 0, v10, s[0:1]
	v_add_co_u32_e64 v14, s[0:1], 1, v4
	v_addc_co_u32_e64 v15, s[0:1], 0, v10, s[0:1]
	v_subb_co_u32_e32 v9, vcc, v6, v9, vcc
	v_cmp_ne_u32_e64 s[0:1], 0, v11
	v_cmp_le_u32_e32 vcc, s25, v9
	v_cndmask_b32_e64 v11, v15, v13, s[0:1]
	v_cndmask_b32_e64 v13, 0, -1, vcc
	v_cmp_le_u32_e32 vcc, s24, v8
	v_cndmask_b32_e64 v8, 0, -1, vcc
	v_cmp_eq_u32_e32 vcc, s25, v9
	v_cndmask_b32_e32 v8, v13, v8, vcc
	v_cmp_ne_u32_e32 vcc, 0, v8
	v_cndmask_b32_e64 v8, v14, v12, s[0:1]
	v_cndmask_b32_e32 v23, v10, v11, vcc
	v_cndmask_b32_e32 v22, v4, v8, vcc
.LBB0_4:                                ;   in Loop: Header=BB0_2 Depth=1
	s_andn2_saveexec_b64 s[0:1], s[26:27]
	s_cbranch_execz .LBB0_6
; %bb.5:                                ;   in Loop: Header=BB0_2 Depth=1
	v_cvt_f32_u32_e32 v4, s24
	s_sub_i32 s26, 0, s24
	v_mov_b32_e32 v23, v3
	v_rcp_iflag_f32_e32 v4, v4
	v_mul_f32_e32 v4, 0x4f7ffffe, v4
	v_cvt_u32_f32_e32 v4, v4
	v_mul_lo_u32 v8, s26, v4
	v_mul_hi_u32 v8, v4, v8
	v_add_u32_e32 v4, v4, v8
	v_mul_hi_u32 v4, v5, v4
	v_mul_lo_u32 v8, v4, s24
	v_add_u32_e32 v9, 1, v4
	v_sub_u32_e32 v8, v5, v8
	v_subrev_u32_e32 v10, s24, v8
	v_cmp_le_u32_e32 vcc, s24, v8
	v_cndmask_b32_e32 v8, v8, v10, vcc
	v_cndmask_b32_e32 v4, v4, v9, vcc
	v_add_u32_e32 v9, 1, v4
	v_cmp_le_u32_e32 vcc, s24, v8
	v_cndmask_b32_e32 v22, v4, v9, vcc
.LBB0_6:                                ;   in Loop: Header=BB0_2 Depth=1
	s_or_b64 exec, exec, s[0:1]
	v_mul_lo_u32 v4, v23, s24
	v_mul_lo_u32 v10, v22, s25
	v_mad_u64_u32 v[8:9], s[0:1], v22, s24, 0
	s_load_dwordx2 s[0:1], s[6:7], 0x0
	s_load_dwordx2 s[24:25], s[2:3], 0x0
	v_add3_u32 v4, v9, v10, v4
	v_sub_co_u32_e32 v5, vcc, v5, v8
	v_subb_co_u32_e32 v4, vcc, v6, v4, vcc
	s_waitcnt lgkmcnt(0)
	v_mul_lo_u32 v6, s0, v4
	v_mul_lo_u32 v8, s1, v5
	v_mad_u64_u32 v[1:2], s[0:1], s0, v5, v[1:2]
	v_mul_lo_u32 v4, s24, v4
	v_mul_lo_u32 v9, s25, v5
	v_mad_u64_u32 v[20:21], s[0:1], s24, v5, v[20:21]
	s_add_u32 s22, s22, 1
	s_addc_u32 s23, s23, 0
	s_add_u32 s2, s2, 8
	v_add3_u32 v21, v9, v21, v4
	s_addc_u32 s3, s3, 0
	v_mov_b32_e32 v4, s14
	s_add_u32 s6, s6, 8
	v_mov_b32_e32 v5, s15
	s_addc_u32 s7, s7, 0
	v_cmp_ge_u64_e32 vcc, s[22:23], v[4:5]
	s_add_u32 s20, s20, 8
	v_add3_u32 v2, v8, v2, v6
	s_addc_u32 s21, s21, 0
	s_cbranch_vccnz .LBB0_9
; %bb.7:                                ;   in Loop: Header=BB0_2 Depth=1
	v_mov_b32_e32 v5, v22
	v_mov_b32_e32 v6, v23
	s_branch .LBB0_2
.LBB0_8:
	v_mov_b32_e32 v21, v2
	v_mov_b32_e32 v23, v6
	;; [unrolled: 1-line block ×4, first 2 shown]
.LBB0_9:
	s_load_dwordx2 s[0:1], s[4:5], 0x28
	s_lshl_b64 s[6:7], s[14:15], 3
	s_add_u32 s2, s18, s6
	s_addc_u32 s3, s19, s7
	v_and_b32_e32 v24, 15, v0
	s_waitcnt lgkmcnt(0)
	v_cmp_gt_u64_e32 vcc, s[0:1], v[22:23]
	v_cmp_le_u64_e64 s[0:1], s[0:1], v[22:23]
	s_and_saveexec_b64 s[4:5], s[0:1]
	s_xor_b64 s[0:1], exec, s[4:5]
; %bb.10:
	v_and_b32_e32 v24, 15, v0
                                        ; implicit-def: $vgpr1_vgpr2
; %bb.11:
	s_or_saveexec_b64 s[4:5], s[0:1]
	v_mul_u32_u24_e32 v3, 0x60, v7
	v_lshlrev_b32_e32 v0, 3, v3
	s_xor_b64 exec, exec, s[4:5]
	s_cbranch_execz .LBB0_13
; %bb.12:
	s_add_u32 s0, s16, s6
	s_addc_u32 s1, s17, s7
	s_load_dwordx2 s[0:1], s[0:1], 0x0
	v_mov_b32_e32 v8, s9
	v_lshlrev_b64 v[1:2], 3, v[1:2]
	v_lshlrev_b32_e32 v16, 3, v24
	s_waitcnt lgkmcnt(0)
	v_mul_lo_u32 v6, s1, v22
	v_mul_lo_u32 v7, s0, v23
	v_mad_u64_u32 v[4:5], s[0:1], s0, v22, 0
	v_add3_u32 v5, v5, v7, v6
	v_lshlrev_b64 v[4:5], 3, v[4:5]
	v_add_co_u32_e64 v4, s[0:1], s8, v4
	v_addc_co_u32_e64 v5, s[0:1], v8, v5, s[0:1]
	v_add_co_u32_e64 v1, s[0:1], v4, v1
	v_addc_co_u32_e64 v2, s[0:1], v5, v2, s[0:1]
	;; [unrolled: 2-line block ×3, first 2 shown]
	global_load_dwordx2 v[4:5], v[1:2], off
	global_load_dwordx2 v[6:7], v[1:2], off offset:128
	global_load_dwordx2 v[8:9], v[1:2], off offset:256
	;; [unrolled: 1-line block ×5, first 2 shown]
	v_or_b32_e32 v1, v3, v24
	v_add_u32_e32 v2, v3, v24
	v_lshl_add_u32 v1, v1, 3, 0
	v_lshl_add_u32 v2, v2, 3, 0
	v_add3_u32 v3, 0, v0, v16
	s_waitcnt vmcnt(5)
	ds_write_b64 v1, v[4:5]
	s_waitcnt vmcnt(4)
	ds_write_b64 v2, v[6:7] offset:128
	s_waitcnt vmcnt(2)
	ds_write2_b64 v3, v[8:9], v[10:11] offset0:32 offset1:48
	s_waitcnt vmcnt(0)
	ds_write2_b64 v3, v[12:13], v[14:15] offset0:64 offset1:80
.LBB0_13:
	s_or_b64 exec, exec, s[4:5]
	v_lshlrev_b32_e32 v1, 3, v24
	v_add_u32_e32 v37, 0, v0
	v_add3_u32 v38, 0, v1, v0
	s_load_dwordx2 s[2:3], s[2:3], 0x0
	s_waitcnt lgkmcnt(0)
	s_barrier
	v_add_u32_e32 v39, v37, v1
	ds_read2_b64 v[0:3], v38 offset0:16 offset1:32
	ds_read_b64 v[8:9], v39
	ds_read2_b64 v[4:7], v38 offset0:48 offset1:64
	ds_read_b64 v[10:11], v38 offset:640
	v_cmp_gt_u32_e64 s[0:1], 6, v24
	s_waitcnt lgkmcnt(0)
	v_add_f32_e32 v12, v8, v2
	v_add_f32_e32 v13, v2, v6
	v_fma_f32 v8, -0.5, v13, v8
	v_sub_f32_e32 v13, v3, v7
	v_mov_b32_e32 v14, v8
	v_fmac_f32_e32 v14, 0x3f5db3d7, v13
	v_fmac_f32_e32 v8, 0xbf5db3d7, v13
	v_add_f32_e32 v13, v9, v3
	v_add_f32_e32 v3, v3, v7
	v_fmac_f32_e32 v9, -0.5, v3
	v_add_f32_e32 v12, v12, v6
	v_sub_f32_e32 v2, v2, v6
	v_mov_b32_e32 v3, v9
	v_add_f32_e32 v6, v4, v10
	v_fmac_f32_e32 v3, 0xbf5db3d7, v2
	v_fmac_f32_e32 v9, 0x3f5db3d7, v2
	v_add_f32_e32 v2, v0, v4
	v_fma_f32 v0, -0.5, v6, v0
	v_add_f32_e32 v13, v13, v7
	v_sub_f32_e32 v6, v5, v11
	v_mov_b32_e32 v7, v0
	v_fmac_f32_e32 v7, 0x3f5db3d7, v6
	v_fmac_f32_e32 v0, 0xbf5db3d7, v6
	v_add_f32_e32 v6, v1, v5
	v_add_f32_e32 v5, v5, v11
	v_fma_f32 v1, -0.5, v5, v1
	v_sub_f32_e32 v4, v4, v10
	v_mov_b32_e32 v5, v1
	v_fmac_f32_e32 v5, 0xbf5db3d7, v4
	v_add_f32_e32 v2, v2, v10
	v_fmac_f32_e32 v1, 0x3f5db3d7, v4
	v_mul_f32_e32 v4, 0x3f5db3d7, v5
	v_mul_f32_e32 v10, -0.5, v0
	v_fmac_f32_e32 v4, 0.5, v7
	v_fmac_f32_e32 v10, 0x3f5db3d7, v1
	v_mul_f32_e32 v7, 0xbf5db3d7, v7
	v_mul_f32_e32 v1, -0.5, v1
	v_add_f32_e32 v6, v6, v11
	v_fmac_f32_e32 v7, 0.5, v5
	v_fmac_f32_e32 v1, 0xbf5db3d7, v0
	v_add_f32_e32 v25, v12, v2
	v_add_f32_e32 v33, v14, v4
	;; [unrolled: 1-line block ×6, first 2 shown]
	v_sub_f32_e32 v31, v12, v2
	v_sub_f32_e32 v27, v14, v4
	;; [unrolled: 1-line block ×6, first 2 shown]
	v_mad_u32_u24 v0, v24, 40, v38
	s_barrier
	ds_write2_b64 v0, v[25:26], v[33:34] offset1:1
	ds_write2_b64 v0, v[29:30], v[31:32] offset0:2 offset1:3
	ds_write2_b64 v0, v[27:28], v[4:5] offset0:4 offset1:5
	s_waitcnt lgkmcnt(0)
	s_barrier
	s_waitcnt lgkmcnt(0)
                                        ; implicit-def: $vgpr3
                                        ; implicit-def: $vgpr9
                                        ; implicit-def: $vgpr36
                                        ; implicit-def: $vgpr13
                                        ; implicit-def: $vgpr17
                                        ; implicit-def: $vgpr7
	s_and_saveexec_b64 s[4:5], s[0:1]
	s_cbranch_execz .LBB0_15
; %bb.14:
	ds_read2_b64 v[12:15], v38 offset0:18 offset1:24
	ds_read2_b64 v[33:36], v38 offset0:6 offset1:12
	;; [unrolled: 1-line block ×5, first 2 shown]
	s_waitcnt lgkmcnt(4)
	v_mov_b32_e32 v28, v15
	v_mov_b32_e32 v27, v14
	;; [unrolled: 1-line block ×4, first 2 shown]
	s_waitcnt lgkmcnt(3)
	v_mov_b32_e32 v30, v36
	v_mov_b32_e32 v29, v35
	ds_read_b64 v[25:26], v39
	ds_read_b64 v[35:36], v38 offset:720
	ds_read2_b64 v[12:15], v38 offset0:66 offset1:72
	ds_read2_b64 v[16:19], v38 offset0:78 offset1:84
.LBB0_15:
	s_or_b64 exec, exec, s[4:5]
	s_waitcnt lgkmcnt(0)
	s_barrier
	s_and_saveexec_b64 s[4:5], s[0:1]
	s_cbranch_execz .LBB0_17
; %bb.16:
	s_movk_i32 s0, 0xab
	v_mul_lo_u16_sdwa v40, v24, s0 dst_sel:DWORD dst_unused:UNUSED_PAD src0_sel:BYTE_0 src1_sel:DWORD
	v_lshrrev_b16_e32 v40, 10, v40
	v_mul_lo_u16_e32 v40, 6, v40
	v_sub_u16_e32 v40, v24, v40
	v_mul_lo_u16_e32 v40, 15, v40
	v_mov_b32_e32 v41, 3
	v_lshlrev_b32_sdwa v46, v41, v40 dst_sel:DWORD dst_unused:UNUSED_PAD src0_sel:DWORD src1_sel:BYTE_0
	global_load_dwordx4 v[40:43], v46, s[12:13] offset:96
	global_load_dwordx2 v[44:45], v46, s[12:13] offset:112
	s_waitcnt vmcnt(1)
	v_mul_f32_e32 v47, v18, v43
	v_mul_f32_e32 v49, v16, v41
	v_fmac_f32_e32 v47, v19, v42
	v_mul_f32_e32 v19, v19, v43
	v_fmac_f32_e32 v49, v17, v40
	v_mul_f32_e32 v17, v17, v41
	v_fma_f32 v48, v18, v42, -v19
	v_fma_f32 v50, v16, v40, -v17
	global_load_dwordx4 v[16:19], v46, s[12:13] offset:64
	global_load_dwordx4 v[40:43], v46, s[12:13] offset:80
	s_waitcnt vmcnt(1)
	v_mul_f32_e32 v51, v11, v19
	v_fma_f32 v51, v10, v18, -v51
	v_mul_f32_e32 v52, v10, v19
	v_mul_f32_e32 v10, v9, v17
	;; [unrolled: 1-line block ×3, first 2 shown]
	v_fmac_f32_e32 v52, v11, v18
	v_fma_f32 v53, v8, v16, -v10
	v_fmac_f32_e32 v54, v9, v16
	global_load_dwordx4 v[8:11], v46, s[12:13] offset:48
	global_load_dwordx4 v[16:19], v46, s[12:13] offset:32
	s_waitcnt vmcnt(1)
	v_mul_f32_e32 v56, v0, v9
	v_fmac_f32_e32 v56, v1, v8
	v_mul_f32_e32 v1, v1, v9
	v_fma_f32 v8, v0, v8, -v1
	v_mul_f32_e32 v0, v3, v11
	v_mul_f32_e32 v55, v2, v11
	v_fma_f32 v9, v2, v10, -v0
	v_mul_f32_e32 v0, v15, v43
	v_fmac_f32_e32 v55, v3, v10
	v_fma_f32 v10, v14, v42, -v0
	v_mul_f32_e32 v0, v13, v41
	v_fma_f32 v11, v12, v40, -v0
	v_mul_f32_e32 v12, v12, v41
	v_fmac_f32_e32 v12, v13, v40
	v_mul_f32_e32 v13, v14, v43
	s_waitcnt vmcnt(0)
	v_mul_f32_e32 v14, v6, v19
	v_mul_f32_e32 v0, v7, v19
	v_fmac_f32_e32 v13, v15, v42
	v_fmac_f32_e32 v14, v7, v18
	v_fma_f32 v15, v6, v18, -v0
	v_mul_f32_e32 v18, v4, v17
	v_mul_f32_e32 v0, v5, v17
	v_fmac_f32_e32 v18, v5, v16
	v_fma_f32 v16, v4, v16, -v0
	global_load_dwordx4 v[0:3], v46, s[12:13]
	global_load_dwordx4 v[4:7], v46, s[12:13] offset:16
	v_sub_f32_e32 v9, v25, v9
	v_mul_f32_e32 v19, v36, v45
	v_fma_f32 v19, v35, v44, -v19
	v_sub_f32_e32 v19, v8, v19
	v_fma_f32 v8, v8, 2.0, -v19
	v_fma_f32 v25, v25, 2.0, -v9
	s_waitcnt vmcnt(1)
	v_mul_f32_e32 v17, v30, v3
	v_mul_f32_e32 v3, v29, v3
	v_fma_f32 v17, v29, v2, -v17
	v_fmac_f32_e32 v3, v30, v2
	v_mul_f32_e32 v2, v34, v1
	v_mul_f32_e32 v1, v33, v1
	v_fma_f32 v2, v33, v0, -v2
	v_fmac_f32_e32 v1, v34, v0
	s_waitcnt vmcnt(0)
	v_mul_f32_e32 v0, v32, v5
	v_mul_f32_e32 v5, v31, v5
	v_fma_f32 v0, v31, v4, -v0
	v_fmac_f32_e32 v5, v32, v4
	v_mul_f32_e32 v4, v28, v7
	v_mul_f32_e32 v7, v27, v7
	v_fma_f32 v4, v27, v6, -v4
	v_fmac_f32_e32 v7, v28, v6
	v_sub_f32_e32 v27, v26, v55
	v_sub_f32_e32 v10, v4, v10
	;; [unrolled: 1-line block ×4, first 2 shown]
	v_fma_f32 v32, v4, 2.0, -v10
	v_add_f32_e32 v4, v27, v10
	v_sub_f32_e32 v13, v7, v13
	v_sub_f32_e32 v28, v17, v51
	;; [unrolled: 1-line block ×3, first 2 shown]
	v_fma_f32 v15, v15, 2.0, -v30
	v_add_f32_e32 v30, v31, v30
	v_mov_b32_e32 v10, v4
	v_fma_f32 v33, v7, 2.0, -v13
	v_sub_f32_e32 v7, v9, v13
	v_mul_f32_e32 v6, v35, v45
	v_fma_f32 v14, v14, 2.0, -v29
	v_sub_f32_e32 v29, v28, v29
	v_fmac_f32_e32 v10, 0x3f3504f3, v30
	v_mov_b32_e32 v13, v7
	v_fmac_f32_e32 v6, v36, v44
	v_fmac_f32_e32 v10, 0x3f3504f3, v29
	;; [unrolled: 1-line block ×3, first 2 shown]
	v_fma_f32 v17, v17, 2.0, -v28
	v_fma_f32 v28, v28, 2.0, -v29
	;; [unrolled: 1-line block ×4, first 2 shown]
	v_sub_f32_e32 v31, v2, v53
	v_sub_f32_e32 v34, v18, v49
	;; [unrolled: 1-line block ×6, first 2 shown]
	v_fma_f32 v18, v18, 2.0, -v34
	v_sub_f32_e32 v34, v31, v34
	v_sub_f32_e32 v12, v5, v12
	v_fma_f32 v16, v16, 2.0, -v36
	v_add_f32_e32 v36, v40, v36
	v_fmac_f32_e32 v13, 0xbf3504f3, v30
	v_fma_f32 v30, v56, 2.0, -v6
	v_sub_f32_e32 v6, v11, v6
	v_mov_b32_e32 v35, v34
	v_add_f32_e32 v19, v12, v19
	v_mov_b32_e32 v41, v36
	v_fmac_f32_e32 v35, 0x3f3504f3, v6
	v_fmac_f32_e32 v41, 0x3f3504f3, v19
	v_fma_f32 v26, v26, 2.0, -v27
	v_fmac_f32_e32 v41, 0x3f3504f3, v6
	v_fma_f32 v42, v0, 2.0, -v11
	v_fma_f32 v0, v11, 2.0, -v6
	v_fmac_f32_e32 v35, 0xbf3504f3, v19
	v_fma_f32 v11, v5, 2.0, -v12
	v_fma_f32 v5, v12, 2.0, -v19
	;; [unrolled: 1-line block ×5, first 2 shown]
	v_mov_b32_e32 v1, v10
	v_mov_b32_e32 v45, v27
	;; [unrolled: 1-line block ×3, first 2 shown]
	v_fmac_f32_e32 v1, 0x3f6c835e, v41
	v_fma_f32 v12, v2, 2.0, -v31
	v_fma_f32 v31, v31, 2.0, -v34
	;; [unrolled: 1-line block ×3, first 2 shown]
	v_fmac_f32_e32 v45, 0xbf3504f3, v3
	v_fmac_f32_e32 v47, 0xbf3504f3, v28
	;; [unrolled: 1-line block ×3, first 2 shown]
	v_mov_b32_e32 v43, v31
	v_mov_b32_e32 v44, v40
	v_fmac_f32_e32 v45, 0x3f3504f3, v28
	v_fmac_f32_e32 v47, 0xbf3504f3, v3
	v_fma_f32 v28, v4, 2.0, -v10
	v_fma_f32 v3, v10, 2.0, -v1
	;; [unrolled: 1-line block ×3, first 2 shown]
	v_fmac_f32_e32 v43, 0xbf3504f3, v0
	v_fmac_f32_e32 v44, 0xbf3504f3, v5
	v_fma_f32 v6, v34, 2.0, -v35
	v_mov_b32_e32 v4, v10
	v_fmac_f32_e32 v43, 0xbf3504f3, v5
	v_fmac_f32_e32 v44, 0x3f3504f3, v0
	v_mov_b32_e32 v0, v13
	v_fma_f32 v9, v36, 2.0, -v41
	v_mov_b32_e32 v5, v28
	v_fmac_f32_e32 v4, 0xbec3ef15, v6
	v_fmac_f32_e32 v0, 0x3f6c835e, v35
	;; [unrolled: 1-line block ×4, first 2 shown]
	v_sub_f32_e32 v9, v17, v15
	v_sub_f32_e32 v15, v12, v16
	;; [unrolled: 1-line block ×4, first 2 shown]
	v_fmac_f32_e32 v0, 0xbec3ef15, v41
	v_fmac_f32_e32 v5, 0x3f6c835e, v6
	v_fma_f32 v6, v10, 2.0, -v4
	v_sub_f32_e32 v10, v26, v33
	v_fma_f32 v33, v17, 2.0, -v9
	v_fma_f32 v34, v42, 2.0, -v8
	v_add_f32_e32 v17, v16, v8
	v_sub_f32_e32 v18, v25, v32
	v_sub_f32_e32 v8, v29, v14
	v_fma_f32 v2, v13, 2.0, -v0
	v_add_f32_e32 v13, v10, v9
	v_sub_f32_e32 v9, v11, v30
	v_sub_f32_e32 v14, v18, v8
	v_fma_f32 v30, v11, 2.0, -v9
	v_sub_f32_e32 v11, v15, v9
	v_mov_b32_e32 v9, v13
	v_fma_f32 v29, v29, 2.0, -v8
	v_mov_b32_e32 v8, v14
	v_fma_f32 v7, v28, 2.0, -v5
	v_fmac_f32_e32 v9, 0x3f3504f3, v17
	v_fmac_f32_e32 v8, 0x3f3504f3, v11
	v_fma_f32 v28, v31, 2.0, -v43
	v_fma_f32 v31, v40, 2.0, -v44
	;; [unrolled: 1-line block ×4, first 2 shown]
	v_fmac_f32_e32 v9, 0x3f3504f3, v11
	v_fmac_f32_e32 v8, 0xbf3504f3, v17
	v_fma_f32 v32, v19, 2.0, -v16
	v_fma_f32 v16, v16, 2.0, -v17
	;; [unrolled: 1-line block ×5, first 2 shown]
	v_mov_b32_e32 v26, v27
	v_mov_b32_e32 v25, v40
	v_fma_f32 v35, v12, 2.0, -v15
	v_fma_f32 v15, v15, 2.0, -v11
	;; [unrolled: 1-line block ×5, first 2 shown]
	v_mov_b32_e32 v13, v17
	v_fmac_f32_e32 v26, 0xbf6c835e, v31
	v_fmac_f32_e32 v25, 0xbf6c835e, v28
	;; [unrolled: 1-line block ×3, first 2 shown]
	v_mov_b32_e32 v12, v14
	v_fmac_f32_e32 v26, 0x3ec3ef15, v28
	v_fmac_f32_e32 v25, 0xbec3ef15, v31
	v_sub_f32_e32 v31, v36, v29
	v_sub_f32_e32 v34, v35, v34
	;; [unrolled: 1-line block ×4, first 2 shown]
	v_fmac_f32_e32 v13, 0x3f3504f3, v15
	v_fmac_f32_e32 v12, 0xbf3504f3, v15
	v_fma_f32 v28, v27, 2.0, -v26
	v_fma_f32 v27, v40, 2.0, -v25
	;; [unrolled: 1-line block ×3, first 2 shown]
	v_sub_f32_e32 v29, v33, v29
	v_add_f32_e32 v30, v31, v34
	v_fmac_f32_e32 v12, 0xbf3504f3, v16
	v_fma_f32 v15, v17, 2.0, -v13
	v_mov_b32_e32 v17, v45
	v_mov_b32_e32 v16, v47
	v_fma_f32 v36, v36, 2.0, -v31
	v_fma_f32 v32, v31, 2.0, -v30
	;; [unrolled: 1-line block ×5, first 2 shown]
	v_fmac_f32_e32 v17, 0x3ec3ef15, v44
	v_fmac_f32_e32 v16, 0x3ec3ef15, v43
	v_sub_f32_e32 v34, v36, v40
	v_sub_f32_e32 v33, v41, v33
	v_fmac_f32_e32 v17, 0x3f6c835e, v43
	v_fmac_f32_e32 v16, 0xbf6c835e, v44
	v_fma_f32 v36, v36, 2.0, -v34
	v_fma_f32 v35, v41, 2.0, -v33
	;; [unrolled: 1-line block ×5, first 2 shown]
	ds_write_b64 v39, v[35:36]
	ds_write2_b64 v38, v[27:28], v[14:15] offset0:6 offset1:12
	ds_write2_b64 v38, v[6:7], v[31:32] offset0:18 offset1:24
	ds_write2_b64 v38, v[18:19], v[10:11] offset0:30 offset1:36
	ds_write2_b64 v38, v[2:3], v[33:34] offset0:42 offset1:48
	ds_write2_b64 v38, v[25:26], v[12:13] offset0:54 offset1:60
	ds_write2_b64 v38, v[4:5], v[29:30] offset0:66 offset1:72
	ds_write2_b64 v38, v[16:17], v[8:9] offset0:78 offset1:84
	ds_write_b64 v38, v[0:1] offset:720
.LBB0_17:
	s_or_b64 exec, exec, s[4:5]
	s_waitcnt lgkmcnt(0)
	s_barrier
	s_and_saveexec_b64 s[0:1], vcc
	s_cbranch_execz .LBB0_19
; %bb.18:
	v_mul_lo_u32 v0, s3, v22
	v_mul_lo_u32 v1, s2, v23
	v_mad_u64_u32 v[4:5], s[0:1], s2, v22, 0
	v_mov_b32_e32 v7, s11
	v_lshl_add_u32 v6, v24, 3, v37
	v_add3_u32 v5, v5, v1, v0
	v_lshlrev_b64 v[4:5], 3, v[4:5]
	v_mov_b32_e32 v25, 0
	v_add_co_u32_e32 v8, vcc, s10, v4
	v_addc_co_u32_e32 v7, vcc, v7, v5, vcc
	v_lshlrev_b64 v[4:5], 3, v[20:21]
	ds_read2_b64 v[0:3], v6 offset1:16
	v_add_co_u32_e32 v8, vcc, v8, v4
	v_addc_co_u32_e32 v7, vcc, v7, v5, vcc
	v_lshlrev_b64 v[4:5], 3, v[24:25]
	v_add_co_u32_e32 v4, vcc, v8, v4
	v_addc_co_u32_e32 v5, vcc, v7, v5, vcc
	s_waitcnt lgkmcnt(0)
	global_store_dwordx2 v[4:5], v[0:1], off
	v_add_u32_e32 v0, 16, v24
	v_mov_b32_e32 v1, v25
	v_lshlrev_b64 v[0:1], 3, v[0:1]
	v_add_u32_e32 v4, 32, v24
	v_add_co_u32_e32 v0, vcc, v8, v0
	v_addc_co_u32_e32 v1, vcc, v7, v1, vcc
	global_store_dwordx2 v[0:1], v[2:3], off
	v_mov_b32_e32 v5, v25
	ds_read2_b64 v[0:3], v6 offset0:32 offset1:48
	v_lshlrev_b64 v[4:5], 3, v[4:5]
	v_add_co_u32_e32 v4, vcc, v8, v4
	v_addc_co_u32_e32 v5, vcc, v7, v5, vcc
	s_waitcnt lgkmcnt(0)
	global_store_dwordx2 v[4:5], v[0:1], off
	v_add_u32_e32 v0, 48, v24
	v_mov_b32_e32 v1, v25
	v_lshlrev_b64 v[0:1], 3, v[0:1]
	v_add_u32_e32 v4, 64, v24
	v_add_co_u32_e32 v0, vcc, v8, v0
	v_addc_co_u32_e32 v1, vcc, v7, v1, vcc
	global_store_dwordx2 v[0:1], v[2:3], off
	v_mov_b32_e32 v5, v25
	ds_read2_b64 v[0:3], v6 offset0:64 offset1:80
	v_lshlrev_b64 v[4:5], 3, v[4:5]
	v_add_u32_e32 v24, 0x50, v24
	v_add_co_u32_e32 v4, vcc, v8, v4
	v_addc_co_u32_e32 v5, vcc, v7, v5, vcc
	s_waitcnt lgkmcnt(0)
	global_store_dwordx2 v[4:5], v[0:1], off
	v_lshlrev_b64 v[0:1], 3, v[24:25]
	v_add_co_u32_e32 v0, vcc, v8, v0
	v_addc_co_u32_e32 v1, vcc, v7, v1, vcc
	global_store_dwordx2 v[0:1], v[2:3], off
.LBB0_19:
	s_endpgm
	.section	.rodata,"a",@progbits
	.p2align	6, 0x0
	.amdhsa_kernel fft_rtc_fwd_len96_factors_6_16_wgs_128_tpt_16_sp_op_CI_CI_unitstride_sbrr_dirReg
		.amdhsa_group_segment_fixed_size 0
		.amdhsa_private_segment_fixed_size 0
		.amdhsa_kernarg_size 104
		.amdhsa_user_sgpr_count 6
		.amdhsa_user_sgpr_private_segment_buffer 1
		.amdhsa_user_sgpr_dispatch_ptr 0
		.amdhsa_user_sgpr_queue_ptr 0
		.amdhsa_user_sgpr_kernarg_segment_ptr 1
		.amdhsa_user_sgpr_dispatch_id 0
		.amdhsa_user_sgpr_flat_scratch_init 0
		.amdhsa_user_sgpr_private_segment_size 0
		.amdhsa_uses_dynamic_stack 0
		.amdhsa_system_sgpr_private_segment_wavefront_offset 0
		.amdhsa_system_sgpr_workgroup_id_x 1
		.amdhsa_system_sgpr_workgroup_id_y 0
		.amdhsa_system_sgpr_workgroup_id_z 0
		.amdhsa_system_sgpr_workgroup_info 0
		.amdhsa_system_vgpr_workitem_id 0
		.amdhsa_next_free_vgpr 57
		.amdhsa_next_free_sgpr 28
		.amdhsa_reserve_vcc 1
		.amdhsa_reserve_flat_scratch 0
		.amdhsa_float_round_mode_32 0
		.amdhsa_float_round_mode_16_64 0
		.amdhsa_float_denorm_mode_32 3
		.amdhsa_float_denorm_mode_16_64 3
		.amdhsa_dx10_clamp 1
		.amdhsa_ieee_mode 1
		.amdhsa_fp16_overflow 0
		.amdhsa_exception_fp_ieee_invalid_op 0
		.amdhsa_exception_fp_denorm_src 0
		.amdhsa_exception_fp_ieee_div_zero 0
		.amdhsa_exception_fp_ieee_overflow 0
		.amdhsa_exception_fp_ieee_underflow 0
		.amdhsa_exception_fp_ieee_inexact 0
		.amdhsa_exception_int_div_zero 0
	.end_amdhsa_kernel
	.text
.Lfunc_end0:
	.size	fft_rtc_fwd_len96_factors_6_16_wgs_128_tpt_16_sp_op_CI_CI_unitstride_sbrr_dirReg, .Lfunc_end0-fft_rtc_fwd_len96_factors_6_16_wgs_128_tpt_16_sp_op_CI_CI_unitstride_sbrr_dirReg
                                        ; -- End function
	.section	.AMDGPU.csdata,"",@progbits
; Kernel info:
; codeLenInByte = 3852
; NumSgprs: 32
; NumVgprs: 57
; ScratchSize: 0
; MemoryBound: 0
; FloatMode: 240
; IeeeMode: 1
; LDSByteSize: 0 bytes/workgroup (compile time only)
; SGPRBlocks: 3
; VGPRBlocks: 14
; NumSGPRsForWavesPerEU: 32
; NumVGPRsForWavesPerEU: 57
; Occupancy: 4
; WaveLimiterHint : 1
; COMPUTE_PGM_RSRC2:SCRATCH_EN: 0
; COMPUTE_PGM_RSRC2:USER_SGPR: 6
; COMPUTE_PGM_RSRC2:TRAP_HANDLER: 0
; COMPUTE_PGM_RSRC2:TGID_X_EN: 1
; COMPUTE_PGM_RSRC2:TGID_Y_EN: 0
; COMPUTE_PGM_RSRC2:TGID_Z_EN: 0
; COMPUTE_PGM_RSRC2:TIDIG_COMP_CNT: 0
	.type	__hip_cuid_6eee940e813fac9a,@object ; @__hip_cuid_6eee940e813fac9a
	.section	.bss,"aw",@nobits
	.globl	__hip_cuid_6eee940e813fac9a
__hip_cuid_6eee940e813fac9a:
	.byte	0                               ; 0x0
	.size	__hip_cuid_6eee940e813fac9a, 1

	.ident	"AMD clang version 19.0.0git (https://github.com/RadeonOpenCompute/llvm-project roc-6.4.0 25133 c7fe45cf4b819c5991fe208aaa96edf142730f1d)"
	.section	".note.GNU-stack","",@progbits
	.addrsig
	.addrsig_sym __hip_cuid_6eee940e813fac9a
	.amdgpu_metadata
---
amdhsa.kernels:
  - .args:
      - .actual_access:  read_only
        .address_space:  global
        .offset:         0
        .size:           8
        .value_kind:     global_buffer
      - .offset:         8
        .size:           8
        .value_kind:     by_value
      - .actual_access:  read_only
        .address_space:  global
        .offset:         16
        .size:           8
        .value_kind:     global_buffer
      - .actual_access:  read_only
        .address_space:  global
        .offset:         24
        .size:           8
        .value_kind:     global_buffer
      - .actual_access:  read_only
        .address_space:  global
        .offset:         32
        .size:           8
        .value_kind:     global_buffer
      - .offset:         40
        .size:           8
        .value_kind:     by_value
      - .actual_access:  read_only
        .address_space:  global
        .offset:         48
        .size:           8
        .value_kind:     global_buffer
      - .actual_access:  read_only
        .address_space:  global
        .offset:         56
        .size:           8
        .value_kind:     global_buffer
      - .offset:         64
        .size:           4
        .value_kind:     by_value
      - .actual_access:  read_only
        .address_space:  global
        .offset:         72
        .size:           8
        .value_kind:     global_buffer
      - .actual_access:  read_only
        .address_space:  global
        .offset:         80
        .size:           8
        .value_kind:     global_buffer
      - .actual_access:  read_only
        .address_space:  global
        .offset:         88
        .size:           8
        .value_kind:     global_buffer
      - .actual_access:  write_only
        .address_space:  global
        .offset:         96
        .size:           8
        .value_kind:     global_buffer
    .group_segment_fixed_size: 0
    .kernarg_segment_align: 8
    .kernarg_segment_size: 104
    .language:       OpenCL C
    .language_version:
      - 2
      - 0
    .max_flat_workgroup_size: 128
    .name:           fft_rtc_fwd_len96_factors_6_16_wgs_128_tpt_16_sp_op_CI_CI_unitstride_sbrr_dirReg
    .private_segment_fixed_size: 0
    .sgpr_count:     32
    .sgpr_spill_count: 0
    .symbol:         fft_rtc_fwd_len96_factors_6_16_wgs_128_tpt_16_sp_op_CI_CI_unitstride_sbrr_dirReg.kd
    .uniform_work_group_size: 1
    .uses_dynamic_stack: false
    .vgpr_count:     57
    .vgpr_spill_count: 0
    .wavefront_size: 64
amdhsa.target:   amdgcn-amd-amdhsa--gfx906
amdhsa.version:
  - 1
  - 2
...

	.end_amdgpu_metadata
